;; amdgpu-corpus repo=FlagOpen/FlagGems kind=triton arch=gfx950 opt=O3 lang=triton
	.amdgcn_target "amdgcn-amd-amdhsa--gfx950"
	.amdhsa_code_object_version 5
	.text
	.globl	scan_part_sum_kernel            ; -- Begin function scan_part_sum_kernel
	.p2align	8
	.type	scan_part_sum_kernel,@function
scan_part_sum_kernel:                   ; @scan_part_sum_kernel
.Lfunc_begin0:
	.cfi_sections .debug_frame
	.cfi_startproc
; %bb.27:
	.file	1 "/root/src/amdgpu-assembly/repos/FlagOpen__FlagGems/triton_aot_kernels" "cumsum_aot.py"
	.loc	1 8 0 prologue_end              ; cumsum_aot.py:8:0
	s_load_dwordx2 s[2:3], s[0:1], 0x0
	s_load_dwordx8 s[4:11], s[0:1], 0x8
	s_load_dwordx2 s[12:13], s[0:1], 0x28
	s_waitcnt lgkmcnt(0)
	s_branch .LBB0_0
	.loc	1 0 0 is_stmt 0                 ; :0:0
.Ltmp0:
	.p2align	8
; %bb.28:
.LBB0_0:
.Ltmp1:
	.loc	1 39 31 is_stmt 1               ; cumsum_aot.py:39:31
	v_lshrrev_b32_e32 v1, 6, v0
	.loc	1 17 19                         ; cumsum_aot.py:17:19
	s_lshl_b32 s0, s14, 10
	.loc	1 39 31                         ; cumsum_aot.py:39:31
	v_readfirstlane_b32 s15, v1
	.loc	1 17 45                         ; cumsum_aot.py:17:45
	s_lshl_b32 s1, s15, 6
	s_and_b32 s1, s1, 0xc0
	v_and_b32_e32 v17, 63, v0
	.loc	1 17 32 is_stmt 0               ; cumsum_aot.py:17:32
	s_or_b32 s0, s1, s0
	v_or_b32_e32 v18, s0, v17
	.loc	1 20 21 is_stmt 1               ; cumsum_aot.py:20:21
	v_ashrrev_i32_e32 v19, 31, v18
	.loc	1 21 23                         ; cumsum_aot.py:21:23
	v_mov_b32_e32 v20, 0
	.loc	1 18 20                         ; cumsum_aot.py:18:20
	v_cmp_gt_i32_e64 s[0:1], s8, v18
	.loc	1 20 21                         ; cumsum_aot.py:20:21
	v_lshl_add_u64 v[2:3], v[18:19], 2, s[2:3]
	v_mov_b32_e32 v21, v20
	.loc	1 21 23                         ; cumsum_aot.py:21:23
	s_and_saveexec_b64 s[2:3], s[0:1]
	s_cbranch_execz .LBB0_2
; %bb.1:
	global_load_dword v21, v[2:3], off
.LBB0_2:
	.loc	1 0 23 is_stmt 0                ; cumsum_aot.py:0:23
	s_or_b64 exec, exec, s[2:3]
	.loc	1 17 32 is_stmt 1               ; cumsum_aot.py:17:32
	v_or_b32_e32 v4, 0x100, v18
	.loc	1 18 20                         ; cumsum_aot.py:18:20
	v_cmp_gt_i32_e64 s[20:21], s8, v4
	.loc	1 21 23                         ; cumsum_aot.py:21:23
	s_and_saveexec_b64 s[2:3], s[20:21]
	s_cbranch_execz .LBB0_4
; %bb.3:
	global_load_dword v20, v[2:3], off offset:1024
.LBB0_4:
	.loc	1 0 23 is_stmt 0                ; cumsum_aot.py:0:23
	s_or_b64 exec, exec, s[2:3]
	.loc	1 17 32 is_stmt 1               ; cumsum_aot.py:17:32
	v_or_b32_e32 v4, 0x200, v18
	.loc	1 21 23                         ; cumsum_aot.py:21:23
	v_mov_b32_e32 v22, 0
	.loc	1 18 20                         ; cumsum_aot.py:18:20
	v_cmp_gt_i32_e32 vcc, s8, v4
	v_mov_b32_e32 v23, v22
	.loc	1 21 23                         ; cumsum_aot.py:21:23
	s_and_saveexec_b64 s[2:3], vcc
	s_cbranch_execz .LBB0_6
; %bb.5:
	global_load_dword v23, v[2:3], off offset:2048
.LBB0_6:
	.loc	1 0 23 is_stmt 0                ; cumsum_aot.py:0:23
	s_or_b64 exec, exec, s[2:3]
	.loc	1 17 32 is_stmt 1               ; cumsum_aot.py:17:32
	v_or_b32_e32 v4, 0x300, v18
	.loc	1 18 20                         ; cumsum_aot.py:18:20
	v_cmp_gt_i32_e64 s[2:3], s8, v4
	.loc	1 21 23                         ; cumsum_aot.py:21:23
	s_and_saveexec_b64 s[8:9], s[2:3]
	s_cbranch_execz .LBB0_8
; %bb.7:
	global_load_dword v22, v[2:3], off offset:3072
.LBB0_8:
	.loc	1 0 23 is_stmt 0                ; cumsum_aot.py:0:23
	s_or_b64 exec, exec, s[8:9]
.Ltmp2:
	.file	2 "/root/.local/lib/python3.13/site-packages/triton/language" "standard.py"
	.loc	2 343 60 is_stmt 1              ; standard.py:343:60 @[ cumsum_aot.py:31:23 ]
	v_sub_u32_e64 v2, v17, 1 clamp
	v_lshlrev_b32_e32 v2, 2, v2
	s_waitcnt vmcnt(0)
	ds_bpermute_b32 v3, v2, v21
	v_lshlrev_b32_e32 v4, 2, v17
	v_add_u32_e32 v5, -8, v4
	v_cmp_eq_u32_e64 s[10:11], 0, v17
	v_cmp_gt_u32_e64 s[8:9], 2, v17
.Ltmp3:
	.loc	2 263 15                        ; standard.py:263:15 @[ standard.py:343:60 @[ cumsum_aot.py:31:23 ] ]
	s_waitcnt lgkmcnt(0)
	v_add_f32_e32 v3, v21, v3
.Ltmp4:
	.loc	2 343 60                        ; standard.py:343:60 @[ cumsum_aot.py:31:23 ]
	v_cndmask_b32_e64 v3, v3, v21, s[10:11]
	v_cndmask_b32_e64 v5, v5, v4, s[8:9]
	ds_bpermute_b32 v6, v5, v3
	v_add_u32_e32 v7, -16, v4
	v_cmp_lt_u32_e64 s[8:9], 1, v17
	v_cmp_gt_u32_e64 s[12:13], 4, v17
	v_subrev_u32_e32 v8, 32, v4
.Ltmp5:
	.loc	2 263 15                        ; standard.py:263:15 @[ standard.py:343:60 @[ cumsum_aot.py:31:23 ] ]
	s_waitcnt lgkmcnt(0)
	v_add_f32_e32 v6, v3, v6
.Ltmp6:
	.loc	2 343 60                        ; standard.py:343:60 @[ cumsum_aot.py:31:23 ]
	v_cndmask_b32_e64 v3, v3, v6, s[8:9]
	v_cndmask_b32_e64 v6, v7, v4, s[12:13]
	ds_bpermute_b32 v7, v6, v3
	v_cmp_lt_u32_e64 s[12:13], 3, v17
	v_cmp_gt_u32_e64 s[16:17], 8, v17
	ds_bpermute_b32 v9, v2, v20
	v_subrev_u32_e32 v10, 64, v4
.Ltmp7:
	.loc	2 263 15                        ; standard.py:263:15 @[ standard.py:343:60 @[ cumsum_aot.py:31:23 ] ]
	s_waitcnt lgkmcnt(1)
	v_add_f32_e32 v7, v3, v7
.Ltmp8:
	.loc	2 343 60                        ; standard.py:343:60 @[ cumsum_aot.py:31:23 ]
	v_cndmask_b32_e64 v3, v3, v7, s[12:13]
	v_cndmask_b32_e64 v7, v8, v4, s[16:17]
	ds_bpermute_b32 v8, v7, v3
	v_cmp_lt_u32_e64 s[16:17], 7, v17
	v_cmp_gt_u32_e64 s[18:19], 16, v17
	v_cmp_gt_u32_e64 s[22:23], 32, v17
.Ltmp9:
	.loc	2 263 15                        ; standard.py:263:15 @[ standard.py:343:60 @[ cumsum_aot.py:31:23 ] ]
	s_waitcnt lgkmcnt(0)
	v_add_f32_e32 v8, v3, v8
.Ltmp10:
	.loc	2 343 60                        ; standard.py:343:60 @[ cumsum_aot.py:31:23 ]
	v_cndmask_b32_e64 v3, v3, v8, s[16:17]
.Ltmp11:
	.loc	2 263 15                        ; standard.py:263:15 @[ standard.py:343:60 @[ cumsum_aot.py:31:23 ] ]
	v_add_f32_e32 v8, v20, v9
.Ltmp12:
	.loc	2 343 60                        ; standard.py:343:60 @[ cumsum_aot.py:31:23 ]
	v_cndmask_b32_e64 v8, v8, v20, s[10:11]
	ds_bpermute_b32 v9, v5, v8
	v_cndmask_b32_e64 v10, v10, v4, s[18:19]
	ds_bpermute_b32 v11, v10, v3
	v_cmp_lt_u32_e64 s[18:19], 15, v17
.Ltmp13:
	.loc	2 263 15                        ; standard.py:263:15 @[ standard.py:343:60 @[ cumsum_aot.py:31:23 ] ]
	s_waitcnt lgkmcnt(1)
	v_add_f32_e32 v9, v8, v9
.Ltmp14:
	.loc	2 343 60                        ; standard.py:343:60 @[ cumsum_aot.py:31:23 ]
	v_cndmask_b32_e64 v8, v8, v9, s[8:9]
	ds_bpermute_b32 v9, v6, v8
.Ltmp15:
	.loc	2 263 15                        ; standard.py:263:15 @[ standard.py:343:60 @[ cumsum_aot.py:31:23 ] ]
	s_waitcnt lgkmcnt(1)
	v_add_f32_e32 v11, v3, v11
.Ltmp16:
	.loc	2 343 60                        ; standard.py:343:60 @[ cumsum_aot.py:31:23 ]
	v_cndmask_b32_e64 v24, v3, v11, s[18:19]
	v_add_u32_e32 v3, 0xffffff80, v4
	v_cndmask_b32_e64 v3, v3, v4, s[22:23]
.Ltmp17:
	.loc	2 263 15                        ; standard.py:263:15 @[ standard.py:343:60 @[ cumsum_aot.py:31:23 ] ]
	s_waitcnt lgkmcnt(0)
	v_add_f32_e32 v9, v8, v9
.Ltmp18:
	.loc	2 343 60                        ; standard.py:343:60 @[ cumsum_aot.py:31:23 ]
	v_cndmask_b32_e64 v8, v8, v9, s[12:13]
	ds_bpermute_b32 v4, v2, v23
	ds_bpermute_b32 v2, v2, v22
	;; [unrolled: 1-line block ×4, first 2 shown]
.Ltmp19:
	.loc	2 263 15                        ; standard.py:263:15 @[ standard.py:343:60 @[ cumsum_aot.py:31:23 ] ]
	s_waitcnt lgkmcnt(3)
	v_add_f32_e32 v4, v23, v4
	s_waitcnt lgkmcnt(2)
	v_add_f32_e32 v2, v22, v2
	;; [unrolled: 2-line block ×3, first 2 shown]
.Ltmp20:
	.loc	2 343 60                        ; standard.py:343:60 @[ cumsum_aot.py:31:23 ]
	v_cndmask_b32_e64 v4, v4, v23, s[10:11]
	v_cndmask_b32_e64 v2, v2, v22, s[10:11]
	;; [unrolled: 1-line block ×3, first 2 shown]
	ds_bpermute_b32 v9, v5, v4
	ds_bpermute_b32 v5, v5, v2
	;; [unrolled: 1-line block ×3, first 2 shown]
.Ltmp21:
	.loc	2 263 15                        ; standard.py:263:15 @[ standard.py:343:60 @[ cumsum_aot.py:31:23 ] ]
	s_waitcnt lgkmcnt(3)
	v_add_f32_e32 v31, v24, v11
	s_waitcnt lgkmcnt(2)
	v_add_f32_e32 v9, v4, v9
	s_waitcnt lgkmcnt(1)
	v_add_f32_e32 v5, v2, v5
.Ltmp22:
	.loc	2 343 60                        ; standard.py:343:60 @[ cumsum_aot.py:31:23 ]
	v_cndmask_b32_e64 v4, v4, v9, s[8:9]
	v_cndmask_b32_e64 v2, v2, v5, s[8:9]
	ds_bpermute_b32 v9, v6, v4
	ds_bpermute_b32 v5, v6, v2
.Ltmp23:
	.loc	2 263 15                        ; standard.py:263:15 @[ standard.py:343:60 @[ cumsum_aot.py:31:23 ] ]
	s_waitcnt lgkmcnt(2)
	v_add_f32_e32 v6, v8, v12
.Ltmp24:
	.loc	2 343 60                        ; standard.py:343:60 @[ cumsum_aot.py:31:23 ]
	v_cndmask_b32_e64 v29, v8, v6, s[18:19]
	v_cmp_eq_u32_e64 s[8:9], 63, v17
.Ltmp25:
	.loc	2 263 15                        ; standard.py:263:15 @[ standard.py:343:60 @[ cumsum_aot.py:31:23 ] ]
	s_waitcnt lgkmcnt(1)
	v_add_f32_e32 v9, v4, v9
	s_waitcnt lgkmcnt(0)
	v_add_f32_e32 v5, v2, v5
.Ltmp26:
	.loc	2 343 60                        ; standard.py:343:60 @[ cumsum_aot.py:31:23 ]
	v_cndmask_b32_e64 v4, v4, v9, s[12:13]
	v_cndmask_b32_e64 v2, v2, v5, s[12:13]
	ds_bpermute_b32 v9, v7, v4
	ds_bpermute_b32 v5, v7, v2
	;; [unrolled: 1-line block ×3, first 2 shown]
.Ltmp27:
	.loc	2 263 15                        ; standard.py:263:15 @[ standard.py:343:60 @[ cumsum_aot.py:31:23 ] ]
	s_waitcnt lgkmcnt(2)
	v_add_f32_e32 v6, v4, v9
	s_waitcnt lgkmcnt(1)
	v_add_f32_e32 v5, v2, v5
.Ltmp28:
	.loc	2 343 60                        ; standard.py:343:60 @[ cumsum_aot.py:31:23 ]
	v_cndmask_b32_e64 v4, v4, v6, s[16:17]
	v_cndmask_b32_e64 v2, v2, v5, s[16:17]
	ds_bpermute_b32 v6, v10, v4
	ds_bpermute_b32 v5, v10, v2
.Ltmp29:
	.loc	2 263 15                        ; standard.py:263:15 @[ standard.py:343:60 @[ cumsum_aot.py:31:23 ] ]
	s_waitcnt lgkmcnt(2)
	v_add_f32_e32 v30, v29, v7
	s_waitcnt lgkmcnt(1)
	v_add_f32_e32 v6, v4, v6
	;; [unrolled: 2-line block ×3, first 2 shown]
.Ltmp30:
	.loc	2 343 60                        ; standard.py:343:60 @[ cumsum_aot.py:31:23 ]
	v_cndmask_b32_e64 v27, v4, v6, s[18:19]
	v_cndmask_b32_e64 v25, v2, v5, s[18:19]
	ds_bpermute_b32 v4, v3, v27
	ds_bpermute_b32 v2, v3, v25
.Ltmp31:
	.loc	2 263 15                        ; standard.py:263:15 @[ standard.py:343:60 @[ cumsum_aot.py:31:23 ] ]
	s_waitcnt lgkmcnt(1)
	v_add_f32_e32 v28, v27, v4
	s_waitcnt lgkmcnt(0)
	v_add_f32_e32 v26, v25, v2
.Ltmp32:
	.loc	2 343 60                        ; standard.py:343:60 @[ cumsum_aot.py:31:23 ]
	s_and_saveexec_b64 s[12:13], s[8:9]
	s_cbranch_execz .LBB0_10
; %bb.9:                                ; %.critedge
	.loc	2 0 60 is_stmt 0                ; standard.py:0:60
	v_lshl_add_u32 v2, v1, 2, 0
	.loc	2 343 60                        ; standard.py:343:60 @[ cumsum_aot.py:31:23 ]
	ds_write2_b32 v2, v31, v30 offset1:4
	ds_write2_b32 v2, v28, v26 offset0:8 offset1:12
.Ltmp33:
.LBB0_10:                               ; %.critedge4
	.loc	2 0 60                          ; standard.py:0:60
	s_or_b64 exec, exec, s[12:13]
.Ltmp34:
	.loc	2 263 15 is_stmt 1              ; standard.py:263:15 @[ standard.py:293:36 @[ cumsum_aot.py:33:30 ] ]
	v_add_f32_e32 v20, v21, v20
	v_add_f32_e32 v20, v20, v23
	;; [unrolled: 1-line block ×3, first 2 shown]
.Ltmp35:
	.loc	2 343 60                        ; standard.py:343:60 @[ cumsum_aot.py:31:23 ]
	v_mov_b32_e32 v14, 0
	s_waitcnt lgkmcnt(0)
.Ltmp36:
	.loc	2 263 15                        ; standard.py:263:15 @[ standard.py:293:36 @[ cumsum_aot.py:33:30 ] ]
	v_add_f32_dpp v20, v20, v20 row_shr:8 row_mask:0xf bank_mask:0xf bound_ctrl:1
.Ltmp37:
	.loc	2 343 60                        ; standard.py:343:60 @[ cumsum_aot.py:31:23 ]
	s_barrier
	ds_read_b128 v[10:13], v14
	ds_read_b128 v[6:9], v14 offset:16
	ds_read_b128 v[2:5], v14 offset:32
	ds_read_b96 v[14:16], v14 offset:48
.Ltmp38:
	.loc	2 263 15                        ; standard.py:263:15 @[ standard.py:293:36 @[ cumsum_aot.py:33:30 ] ]
	v_add_f32_dpp v20, v20, v20 row_shr:4 row_mask:0xf bank_mask:0xf bound_ctrl:1
.Ltmp39:
	.loc	2 293 36                        ; standard.py:293:36 @[ cumsum_aot.py:33:30 ]
	s_waitcnt lgkmcnt(0)
	s_barrier
.Ltmp40:
	.loc	2 263 15                        ; standard.py:263:15 @[ standard.py:293:36 @[ cumsum_aot.py:33:30 ] ]
	v_add_f32_dpp v20, v20, v20 row_shr:2 row_mask:0xf bank_mask:0xf bound_ctrl:1
	s_nop 1
	v_add_f32_dpp v20, v20, v20 row_shr:1 row_mask:0xf bank_mask:0xf bound_ctrl:1
.Ltmp41:
	.loc	2 293 36                        ; standard.py:293:36 @[ cumsum_aot.py:33:30 ]
	v_mov_b32_e32 v21, v20
	s_nop 1
	v_mov_b32_dpp v21, v21 row_bcast:15 row_mask:0xa bank_mask:0xf bound_ctrl:1
.Ltmp42:
	.loc	2 263 15                        ; standard.py:263:15 @[ standard.py:293:36 @[ cumsum_aot.py:33:30 ] ]
	v_add_f32_e32 v20, v20, v21
	s_nop 1
	v_add_f32_dpp v20, v20, v20 row_bcast:31 row_mask:0xf bank_mask:0xf bound_ctrl:1
.Ltmp43:
	.loc	2 293 36                        ; standard.py:293:36 @[ cumsum_aot.py:33:30 ]
	s_nop 0
	v_readlane_b32 s12, v20, 63
	s_and_saveexec_b64 s[8:9], s[10:11]
; %bb.11:
	.loc	2 0 36 is_stmt 0                ; standard.py:0:36
	s_and_b32 s10, s15, 3
	s_lshl2_add_u32 s10, s10, 0
	.loc	2 293 36                        ; standard.py:293:36 @[ cumsum_aot.py:33:30 ]
	v_mov_b32_e32 v20, s10
	v_mov_b32_e32 v21, s12
	ds_write_b32 v20, v21
; %bb.12:
	.loc	2 0 36                          ; standard.py:0:36
	s_or_b64 exec, exec, s[8:9]
	.loc	2 293 36                        ; standard.py:293:36 @[ cumsum_aot.py:33:30 ]
	v_cmp_gt_u32_e64 s[10:11], 4, v0
	v_lshl_add_u32 v20, v0, 2, 0
.Ltmp44:
	.loc	1 33 30 is_stmt 1               ; cumsum_aot.py:33:30
	v_mov_b32_e32 v21, 0
.Ltmp45:
	.loc	2 293 36                        ; standard.py:293:36 @[ cumsum_aot.py:33:30 ]
	s_waitcnt lgkmcnt(0)
	s_barrier
	s_and_saveexec_b64 s[8:9], s[10:11]
; %bb.13:
	ds_read_b32 v21, v20
; %bb.14:
	.loc	2 0 36 is_stmt 0                ; standard.py:0:36
	s_or_b64 exec, exec, s[8:9]
	.loc	2 293 36                        ; standard.py:293:36 @[ cumsum_aot.py:33:30 ]
	s_waitcnt lgkmcnt(0)
	v_mov_b32_e32 v22, v21
	v_and_b32_e32 v23, 3, v0
	v_cmp_eq_u32_e64 s[8:9], 0, v23
	v_mov_b32_dpp v22, v22 quad_perm:[2,3,0,1] row_mask:0xf bank_mask:0xf
.Ltmp46:
	.loc	2 263 15 is_stmt 1              ; standard.py:263:15 @[ standard.py:293:36 @[ cumsum_aot.py:33:30 ] ]
	v_add_f32_e32 v21, v21, v22
.Ltmp47:
	.loc	2 293 36                        ; standard.py:293:36 @[ cumsum_aot.py:33:30 ]
	v_mov_b32_e32 v22, v21
	s_and_b64 s[10:11], s[10:11], s[8:9]
	s_nop 0
	v_mov_b32_dpp v22, v22 quad_perm:[1,0,3,2] row_mask:0xf bank_mask:0xf
	s_and_saveexec_b64 s[8:9], s[10:11]
; %bb.15:
	.loc	2 0 36 is_stmt 0                ; standard.py:0:36
	v_add_f32_e32 v21, v21, v22
	.loc	2 293 36                        ; standard.py:293:36 @[ cumsum_aot.py:33:30 ]
	ds_write_b32 v20, v21
.Ltmp48:
; %bb.16:
	.loc	2 0 36                          ; standard.py:0:36
	s_or_b64 exec, exec, s[8:9]
	s_movk_i32 s8, 0x7f
.Ltmp49:
	.loc	2 343 60 is_stmt 1              ; standard.py:343:60 @[ cumsum_aot.py:31:23 ]
	v_cmp_lt_u32_e64 s[12:13], s8, v0
.Ltmp50:
	.loc	2 293 36                        ; standard.py:293:36 @[ cumsum_aot.py:33:30 ]
	v_mov_b32_e32 v0, 0
	s_waitcnt lgkmcnt(0)
	s_barrier
	ds_read_b32 v20, v0
.Ltmp51:
	.loc	2 263 15                        ; standard.py:263:15 @[ standard.py:343:60 @[ cumsum_aot.py:31:23 ] ]
	v_add_f32_e32 v21, v10, v11
.Ltmp52:
	.loc	2 343 60                        ; standard.py:343:60 @[ cumsum_aot.py:31:23 ]
	v_cmp_lt_u32_e64 s[16:17], 31, v17
	v_cmp_eq_u32_e64 s[10:11], 0, v1
	v_cmp_eq_u32_e64 s[18:19], 3, v1
.Ltmp53:
	.loc	2 263 15                        ; standard.py:263:15 @[ standard.py:343:60 @[ cumsum_aot.py:31:23 ] ]
	v_add_f32_e32 v11, v21, v12
.Ltmp54:
	.loc	1 35 21                         ; cumsum_aot.py:35:21
	v_lshl_add_u64 v[0:1], v[18:19], 2, s[4:5]
	.loc	1 36 23                         ; cumsum_aot.py:36:23
	s_and_saveexec_b64 s[4:5], s[0:1]
	s_cbranch_execz .LBB0_18
; %bb.17:
.Ltmp55:
	.loc	2 343 60                        ; standard.py:343:60 @[ cumsum_aot.py:31:23 ]
	v_cndmask_b32_e64 v10, v10, v21, s[12:13]
	v_cndmask_b32_e64 v12, v24, v31, s[16:17]
	;; [unrolled: 1-line block ×3, first 2 shown]
.Ltmp56:
	.loc	2 263 15                        ; standard.py:263:15 @[ standard.py:343:60 @[ cumsum_aot.py:31:23 ] ]
	v_add_f32_e32 v10, v12, v10
.Ltmp57:
	.loc	2 343 60                        ; standard.py:343:60 @[ cumsum_aot.py:31:23 ]
	v_cndmask_b32_e64 v10, v10, v12, s[10:11]
.Ltmp58:
	.loc	1 36 23                         ; cumsum_aot.py:36:23
	global_store_dword v[0:1], v10, off
.LBB0_18:
	.loc	1 0 23 is_stmt 0                ; cumsum_aot.py:0:23
	s_or_b64 exec, exec, s[4:5]
.Ltmp59:
	.loc	2 263 15 is_stmt 1              ; standard.py:263:15 @[ standard.py:343:60 @[ cumsum_aot.py:31:23 ] ]
	v_add_f32_e32 v10, v11, v13
	v_add_f32_e32 v11, v10, v6
	;; [unrolled: 1-line block ×4, first 2 shown]
.Ltmp60:
	.loc	1 36 23                         ; cumsum_aot.py:36:23
	s_and_saveexec_b64 s[0:1], s[20:21]
	s_cbranch_execz .LBB0_20
; %bb.19:
.Ltmp61:
	.loc	2 343 60                        ; standard.py:343:60 @[ cumsum_aot.py:31:23 ]
	v_cndmask_b32_e64 v10, v11, v10, s[10:11]
	v_cndmask_b32_e64 v7, v10, v7, s[12:13]
	;; [unrolled: 1-line block ×4, first 2 shown]
.Ltmp62:
	.loc	2 263 15                        ; standard.py:263:15 @[ standard.py:343:60 @[ cumsum_aot.py:31:23 ] ]
	v_add_f32_e32 v7, v8, v7
.Ltmp63:
	.loc	1 36 23                         ; cumsum_aot.py:36:23
	global_store_dword v[0:1], v7, off offset:1024
.LBB0_20:
	.loc	1 0 23 is_stmt 0                ; cumsum_aot.py:0:23
	s_or_b64 exec, exec, s[0:1]
.Ltmp64:
	.loc	2 263 15 is_stmt 1              ; standard.py:263:15 @[ standard.py:343:60 @[ cumsum_aot.py:31:23 ] ]
	v_add_f32_e32 v6, v6, v9
	v_add_f32_e32 v7, v6, v2
	v_add_f32_e32 v3, v7, v3
	v_add_f32_e32 v2, v3, v4
.Ltmp65:
	.loc	1 36 23                         ; cumsum_aot.py:36:23
	s_and_saveexec_b64 s[0:1], vcc
	s_cbranch_execz .LBB0_22
; %bb.21:
.Ltmp66:
	.loc	2 343 60                        ; standard.py:343:60 @[ cumsum_aot.py:31:23 ]
	v_cndmask_b32_e64 v6, v7, v6, s[10:11]
	v_cndmask_b32_e64 v3, v6, v3, s[12:13]
	;; [unrolled: 1-line block ×4, first 2 shown]
.Ltmp67:
	.loc	2 263 15                        ; standard.py:263:15 @[ standard.py:343:60 @[ cumsum_aot.py:31:23 ] ]
	v_add_f32_e32 v3, v4, v3
.Ltmp68:
	.loc	1 36 23                         ; cumsum_aot.py:36:23
	global_store_dword v[0:1], v3, off offset:2048
.LBB0_22:
	.loc	1 0 23 is_stmt 0                ; cumsum_aot.py:0:23
	s_or_b64 exec, exec, s[0:1]
	.loc	1 36 23                         ; cumsum_aot.py:36:23
	s_and_saveexec_b64 s[0:1], s[2:3]
	s_cbranch_execz .LBB0_24
; %bb.23:
.Ltmp69:
	.loc	2 263 15 is_stmt 1              ; standard.py:263:15 @[ standard.py:343:60 @[ cumsum_aot.py:31:23 ] ]
	v_add_f32_e32 v2, v2, v5
	v_add_f32_e32 v4, v2, v14
.Ltmp70:
	.loc	2 343 60                        ; standard.py:343:60 @[ cumsum_aot.py:31:23 ]
	v_cndmask_b32_e64 v2, v4, v2, s[10:11]
.Ltmp71:
	.loc	2 263 15                        ; standard.py:263:15 @[ standard.py:343:60 @[ cumsum_aot.py:31:23 ] ]
	v_add_f32_e32 v4, v4, v15
.Ltmp72:
	.loc	2 343 60                        ; standard.py:343:60 @[ cumsum_aot.py:31:23 ]
	v_cndmask_b32_e64 v2, v2, v4, s[12:13]
.Ltmp73:
	.loc	2 263 15                        ; standard.py:263:15 @[ standard.py:343:60 @[ cumsum_aot.py:31:23 ] ]
	v_add_f32_e32 v4, v4, v16
.Ltmp74:
	.loc	2 343 60                        ; standard.py:343:60 @[ cumsum_aot.py:31:23 ]
	v_cndmask_b32_e64 v3, v25, v26, s[16:17]
	v_cndmask_b32_e64 v2, v2, v4, s[18:19]
.Ltmp75:
	.loc	2 263 15                        ; standard.py:263:15 @[ standard.py:343:60 @[ cumsum_aot.py:31:23 ] ]
	v_add_f32_e32 v2, v3, v2
.Ltmp76:
	.loc	1 36 23                         ; cumsum_aot.py:36:23
	global_store_dword v[0:1], v2, off offset:3072
.LBB0_24:
	.loc	1 0 23 is_stmt 0                ; cumsum_aot.py:0:23
	s_or_b64 exec, exec, s[0:1]
	.loc	1 39 31 is_stmt 1               ; cumsum_aot.py:39:31
	v_or_b32_e32 v0, s15, v17
	v_cmp_eq_u32_e32 vcc, 0, v0
	s_and_saveexec_b64 s[0:1], vcc
	s_cbranch_execz .LBB0_26
; %bb.25:
	.loc	1 0 31 is_stmt 0                ; cumsum_aot.py:0:31
	s_ashr_i32 s15, s14, 31
	s_lshl_b64 s[0:1], s[14:15], 2
	s_add_u32 s0, s6, s0
	s_addc_u32 s1, s7, s1
	v_mov_b32_e32 v0, 0
	.loc	1 39 31                         ; cumsum_aot.py:39:31
	s_waitcnt lgkmcnt(0)
	global_store_dword v0, v20, s[0:1]
.LBB0_26:
	.loc	1 39 4                          ; cumsum_aot.py:39:4
	s_endpgm
.Ltmp77:
	.section	.rodata,"a",@progbits
	.p2align	6, 0x0
	.amdhsa_kernel scan_part_sum_kernel
		.amdhsa_group_segment_fixed_size 0
		.amdhsa_private_segment_fixed_size 0
		.amdhsa_kernarg_size 48
		.amdhsa_user_sgpr_count 14
		.amdhsa_user_sgpr_dispatch_ptr 0
		.amdhsa_user_sgpr_queue_ptr 0
		.amdhsa_user_sgpr_kernarg_segment_ptr 1
		.amdhsa_user_sgpr_dispatch_id 0
		.amdhsa_user_sgpr_kernarg_preload_length 12
		.amdhsa_user_sgpr_kernarg_preload_offset 0
		.amdhsa_user_sgpr_private_segment_size 0
		.amdhsa_uses_dynamic_stack 0
		.amdhsa_enable_private_segment 0
		.amdhsa_system_sgpr_workgroup_id_x 1
		.amdhsa_system_sgpr_workgroup_id_y 0
		.amdhsa_system_sgpr_workgroup_id_z 0
		.amdhsa_system_sgpr_workgroup_info 0
		.amdhsa_system_vgpr_workitem_id 0
		.amdhsa_next_free_vgpr 32
		.amdhsa_next_free_sgpr 24
		.amdhsa_accum_offset 32
		.amdhsa_reserve_vcc 1
		.amdhsa_reserve_xnack_mask 1
		.amdhsa_float_round_mode_32 0
		.amdhsa_float_round_mode_16_64 0
		.amdhsa_float_denorm_mode_32 3
		.amdhsa_float_denorm_mode_16_64 3
		.amdhsa_dx10_clamp 1
		.amdhsa_ieee_mode 1
		.amdhsa_fp16_overflow 0
		.amdhsa_tg_split 0
		.amdhsa_exception_fp_ieee_invalid_op 0
		.amdhsa_exception_fp_denorm_src 0
		.amdhsa_exception_fp_ieee_div_zero 0
		.amdhsa_exception_fp_ieee_overflow 0
		.amdhsa_exception_fp_ieee_underflow 0
		.amdhsa_exception_fp_ieee_inexact 0
		.amdhsa_exception_int_div_zero 0
	.end_amdhsa_kernel
	.text
.Lfunc_end0:
	.size	scan_part_sum_kernel, .Lfunc_end0-scan_part_sum_kernel
	.cfi_endproc
                                        ; -- End function
	.set scan_part_sum_kernel.num_vgpr, 32
	.set scan_part_sum_kernel.num_agpr, 0
	.set scan_part_sum_kernel.numbered_sgpr, 24
	.set scan_part_sum_kernel.num_named_barrier, 0
	.set scan_part_sum_kernel.private_seg_size, 0
	.set scan_part_sum_kernel.uses_vcc, 1
	.set scan_part_sum_kernel.uses_flat_scratch, 0
	.set scan_part_sum_kernel.has_dyn_sized_stack, 0
	.set scan_part_sum_kernel.has_recursion, 0
	.set scan_part_sum_kernel.has_indirect_call, 0
	.section	.AMDGPU.csdata,"",@progbits
; Kernel info:
; codeLenInByte = 1888
; TotalNumSgprs: 30
; NumVgprs: 32
; NumAgprs: 0
; TotalNumVgprs: 32
; ScratchSize: 0
; MemoryBound: 0
; FloatMode: 240
; IeeeMode: 1
; LDSByteSize: 0 bytes/workgroup (compile time only)
; SGPRBlocks: 3
; VGPRBlocks: 3
; NumSGPRsForWavesPerEU: 30
; NumVGPRsForWavesPerEU: 32
; AccumOffset: 32
; Occupancy: 8
; WaveLimiterHint : 0
; COMPUTE_PGM_RSRC2:SCRATCH_EN: 0
; COMPUTE_PGM_RSRC2:USER_SGPR: 14
; COMPUTE_PGM_RSRC2:TRAP_HANDLER: 0
; COMPUTE_PGM_RSRC2:TGID_X_EN: 1
; COMPUTE_PGM_RSRC2:TGID_Y_EN: 0
; COMPUTE_PGM_RSRC2:TGID_Z_EN: 0
; COMPUTE_PGM_RSRC2:TIDIG_COMP_CNT: 0
; COMPUTE_PGM_RSRC3_GFX90A:ACCUM_OFFSET: 7
; COMPUTE_PGM_RSRC3_GFX90A:TG_SPLIT: 0
	.text
	.p2alignl 6, 3212836864
	.fill 256, 4, 3212836864
	.section	.AMDGPU.gpr_maximums,"",@progbits
	.set amdgpu.max_num_vgpr, 0
	.set amdgpu.max_num_agpr, 0
	.set amdgpu.max_num_sgpr, 0
	.set amdgpu.max_num_named_barrier, 0
	.text
	.section	.debug_abbrev,"",@progbits
	.byte	1                               ; Abbreviation Code
	.byte	17                              ; DW_TAG_compile_unit
	.byte	1                               ; DW_CHILDREN_yes
	.byte	37                              ; DW_AT_producer
	.byte	14                              ; DW_FORM_strp
	.byte	19                              ; DW_AT_language
	.byte	5                               ; DW_FORM_data2
	.byte	3                               ; DW_AT_name
	.byte	14                              ; DW_FORM_strp
	.byte	16                              ; DW_AT_stmt_list
	.byte	23                              ; DW_FORM_sec_offset
	.byte	27                              ; DW_AT_comp_dir
	.byte	14                              ; DW_FORM_strp
	.byte	17                              ; DW_AT_low_pc
	.byte	1                               ; DW_FORM_addr
	.byte	18                              ; DW_AT_high_pc
	.byte	6                               ; DW_FORM_data4
	.byte	0                               ; EOM(1)
	.byte	0                               ; EOM(2)
	.byte	2                               ; Abbreviation Code
	.byte	46                              ; DW_TAG_subprogram
	.byte	0                               ; DW_CHILDREN_no
	.byte	3                               ; DW_AT_name
	.byte	14                              ; DW_FORM_strp
	.byte	32                              ; DW_AT_inline
	.byte	11                              ; DW_FORM_data1
	.byte	0                               ; EOM(1)
	.byte	0                               ; EOM(2)
	.byte	3                               ; Abbreviation Code
	.byte	46                              ; DW_TAG_subprogram
	.byte	1                               ; DW_CHILDREN_yes
	.byte	17                              ; DW_AT_low_pc
	.byte	1                               ; DW_FORM_addr
	.byte	18                              ; DW_AT_high_pc
	.byte	6                               ; DW_FORM_data4
	.byte	49                              ; DW_AT_abstract_origin
	.byte	19                              ; DW_FORM_ref4
	.byte	0                               ; EOM(1)
	.byte	0                               ; EOM(2)
	.byte	4                               ; Abbreviation Code
	.byte	29                              ; DW_TAG_inlined_subroutine
	.byte	1                               ; DW_CHILDREN_yes
	.byte	49                              ; DW_AT_abstract_origin
	.byte	19                              ; DW_FORM_ref4
	.byte	85                              ; DW_AT_ranges
	.byte	23                              ; DW_FORM_sec_offset
	.byte	88                              ; DW_AT_call_file
	.byte	11                              ; DW_FORM_data1
	.byte	89                              ; DW_AT_call_line
	.byte	11                              ; DW_FORM_data1
	.byte	87                              ; DW_AT_call_column
	.byte	11                              ; DW_FORM_data1
	.byte	0                               ; EOM(1)
	.byte	0                               ; EOM(2)
	.byte	5                               ; Abbreviation Code
	.byte	29                              ; DW_TAG_inlined_subroutine
	.byte	0                               ; DW_CHILDREN_no
	.byte	49                              ; DW_AT_abstract_origin
	.byte	19                              ; DW_FORM_ref4
	.byte	85                              ; DW_AT_ranges
	.byte	23                              ; DW_FORM_sec_offset
	.byte	88                              ; DW_AT_call_file
	.byte	11                              ; DW_FORM_data1
	.byte	89                              ; DW_AT_call_line
	.byte	5                               ; DW_FORM_data2
	.byte	87                              ; DW_AT_call_column
	.byte	11                              ; DW_FORM_data1
	.byte	0                               ; EOM(1)
	.byte	0                               ; EOM(2)
	;; [unrolled: 1-line block ×3, first 2 shown]
	.section	.debug_info,"",@progbits
.Lcu_begin0:
	.long	.Ldebug_info_end0-.Ldebug_info_start0 ; Length of Unit
.Ldebug_info_start0:
	.short	4                               ; DWARF version number
	.long	.debug_abbrev                   ; Offset Into Abbrev. Section
	.byte	8                               ; Address Size (in bytes)
	.byte	1                               ; Abbrev [1] 0xb:0x6c DW_TAG_compile_unit
	.long	.Linfo_string0                  ; DW_AT_producer
	.short	2                               ; DW_AT_language
	.long	.Linfo_string1                  ; DW_AT_name
	.long	.Lline_table_start0             ; DW_AT_stmt_list
	.long	.Linfo_string2                  ; DW_AT_comp_dir
	.quad	.Lfunc_begin0                   ; DW_AT_low_pc
	.long	.Lfunc_end0-.Lfunc_begin0       ; DW_AT_high_pc
	.byte	2                               ; Abbrev [2] 0x2a:0x6 DW_TAG_subprogram
	.long	.Linfo_string3                  ; DW_AT_name
	.byte	1                               ; DW_AT_inline
	.byte	3                               ; Abbrev [3] 0x30:0x46 DW_TAG_subprogram
	.quad	.Lfunc_begin0                   ; DW_AT_low_pc
	.long	.Lfunc_end0-.Lfunc_begin0       ; DW_AT_high_pc
	.long	42                              ; DW_AT_abstract_origin
	.byte	4                               ; Abbrev [4] 0x41:0x1a DW_TAG_inlined_subroutine
	.long	42                              ; DW_AT_abstract_origin
	.long	.Ldebug_ranges0                 ; DW_AT_ranges
	.byte	1                               ; DW_AT_call_file
	.byte	31                              ; DW_AT_call_line
	.byte	23                              ; DW_AT_call_column
	.byte	5                               ; Abbrev [5] 0x4d:0xd DW_TAG_inlined_subroutine
	.long	42                              ; DW_AT_abstract_origin
	.long	.Ldebug_ranges1                 ; DW_AT_ranges
	.byte	2                               ; DW_AT_call_file
	.short	343                             ; DW_AT_call_line
	.byte	60                              ; DW_AT_call_column
	.byte	0                               ; End Of Children Mark
	.byte	4                               ; Abbrev [4] 0x5b:0x1a DW_TAG_inlined_subroutine
	.long	42                              ; DW_AT_abstract_origin
	.long	.Ldebug_ranges2                 ; DW_AT_ranges
	.byte	1                               ; DW_AT_call_file
	.byte	33                              ; DW_AT_call_line
	.byte	30                              ; DW_AT_call_column
	.byte	5                               ; Abbrev [5] 0x67:0xd DW_TAG_inlined_subroutine
	.long	42                              ; DW_AT_abstract_origin
	.long	.Ldebug_ranges3                 ; DW_AT_ranges
	.byte	2                               ; DW_AT_call_file
	.short	293                             ; DW_AT_call_line
	.byte	36                              ; DW_AT_call_column
	.byte	0                               ; End Of Children Mark
	.byte	0                               ; End Of Children Mark
	.byte	0                               ; End Of Children Mark
.Ldebug_info_end0:
	.section	.debug_ranges,"",@progbits
.Ldebug_ranges0:
	.quad	.Ltmp2-.Lfunc_begin0
	.quad	.Ltmp33-.Lfunc_begin0
	;; [unrolled: 1-line block ×22, first 2 shown]
	.quad	0
	.quad	0
.Ldebug_ranges1:
	.quad	.Ltmp3-.Lfunc_begin0
	.quad	.Ltmp4-.Lfunc_begin0
	;; [unrolled: 1-line block ×52, first 2 shown]
	.quad	0
	.quad	0
.Ldebug_ranges2:
	.quad	.Ltmp34-.Lfunc_begin0
	.quad	.Ltmp35-.Lfunc_begin0
	;; [unrolled: 1-line block ×10, first 2 shown]
	.quad	0
	.quad	0
.Ldebug_ranges3:
	.quad	.Ltmp34-.Lfunc_begin0
	.quad	.Ltmp35-.Lfunc_begin0
	;; [unrolled: 1-line block ×12, first 2 shown]
	.quad	0
	.quad	0
	.section	.debug_str,"MS",@progbits,1
.Linfo_string0:
	.asciz	"triton"                        ; string offset=0
.Linfo_string1:
	.asciz	"cumsum_aot.py"                 ; string offset=7
.Linfo_string2:
	.asciz	"/root/src/amdgpu-assembly/repos/FlagOpen__FlagGems/triton_aot_kernels" ; string offset=21
.Linfo_string3:
	.asciz	"scan_part_sum_kernel"          ; string offset=91
	.section	".note.GNU-stack","",@progbits
	.amdgpu_metadata
---
amdhsa.kernels:
  - .agpr_count:     0
    .args:
      - .address_space:  global
        .offset:         0
        .size:           8
        .value_kind:     global_buffer
      - .address_space:  global
        .offset:         8
        .size:           8
        .value_kind:     global_buffer
      - .address_space:  global
        .offset:         16
        .size:           8
        .value_kind:     global_buffer
      - .offset:         24
        .size:           4
        .value_kind:     by_value
      - .offset:         28
        .size:           4
        .value_kind:     by_value
      - .address_space:  global
        .offset:         32
        .size:           8
        .value_kind:     global_buffer
      - .address_space:  global
        .offset:         40
        .size:           8
        .value_kind:     global_buffer
    .group_segment_fixed_size: 0
    .kernarg_segment_align: 8
    .kernarg_segment_size: 48
    .max_flat_workgroup_size: 256
    .name:           scan_part_sum_kernel
    .private_segment_fixed_size: 0
    .sgpr_count:     30
    .sgpr_spill_count: 0
    .symbol:         scan_part_sum_kernel.kd
    .uniform_work_group_size: 1
    .uses_dynamic_stack: false
    .vgpr_count:     32
    .vgpr_spill_count: 0
    .wavefront_size: 64
amdhsa.target:   amdgcn-amd-amdhsa--gfx950
amdhsa.version:
  - 1
  - 2
...

	.end_amdgpu_metadata
	.section	.debug_line,"",@progbits
.Lline_table_start0:
